;; amdgpu-corpus repo=ROCm/rocFFT kind=compiled arch=gfx1030 opt=O3
	.text
	.amdgcn_target "amdgcn-amd-amdhsa--gfx1030"
	.amdhsa_code_object_version 6
	.protected	fft_rtc_back_len1274_factors_2_13_7_7_wgs_182_tpt_182_halfLds_dp_op_CI_CI_unitstride_sbrr_C2R_dirReg ; -- Begin function fft_rtc_back_len1274_factors_2_13_7_7_wgs_182_tpt_182_halfLds_dp_op_CI_CI_unitstride_sbrr_C2R_dirReg
	.globl	fft_rtc_back_len1274_factors_2_13_7_7_wgs_182_tpt_182_halfLds_dp_op_CI_CI_unitstride_sbrr_C2R_dirReg
	.p2align	8
	.type	fft_rtc_back_len1274_factors_2_13_7_7_wgs_182_tpt_182_halfLds_dp_op_CI_CI_unitstride_sbrr_C2R_dirReg,@function
fft_rtc_back_len1274_factors_2_13_7_7_wgs_182_tpt_182_halfLds_dp_op_CI_CI_unitstride_sbrr_C2R_dirReg: ; @fft_rtc_back_len1274_factors_2_13_7_7_wgs_182_tpt_182_halfLds_dp_op_CI_CI_unitstride_sbrr_C2R_dirReg
; %bb.0:
	s_clause 0x2
	s_load_dwordx4 s[12:15], s[4:5], 0x0
	s_load_dwordx4 s[8:11], s[4:5], 0x58
	;; [unrolled: 1-line block ×3, first 2 shown]
	v_mul_u32_u24_e32 v1, 0x169, v0
	v_mov_b32_e32 v3, 0
	v_add_nc_u32_sdwa v5, s6, v1 dst_sel:DWORD dst_unused:UNUSED_PAD src0_sel:DWORD src1_sel:WORD_1
	v_mov_b32_e32 v1, 0
	v_mov_b32_e32 v6, v3
	v_mov_b32_e32 v2, 0
	s_waitcnt lgkmcnt(0)
	v_cmp_lt_u64_e64 s0, s[14:15], 2
	s_and_b32 vcc_lo, exec_lo, s0
	s_cbranch_vccnz .LBB0_8
; %bb.1:
	s_load_dwordx2 s[0:1], s[4:5], 0x10
	v_mov_b32_e32 v1, 0
	v_mov_b32_e32 v2, 0
	s_add_u32 s2, s18, 8
	s_addc_u32 s3, s19, 0
	s_add_u32 s6, s16, 8
	s_addc_u32 s7, s17, 0
	v_mov_b32_e32 v53, v2
	v_mov_b32_e32 v52, v1
	s_mov_b64 s[22:23], 1
	s_waitcnt lgkmcnt(0)
	s_add_u32 s20, s0, 8
	s_addc_u32 s21, s1, 0
.LBB0_2:                                ; =>This Inner Loop Header: Depth=1
	s_load_dwordx2 s[24:25], s[20:21], 0x0
                                        ; implicit-def: $vgpr54_vgpr55
	s_mov_b32 s0, exec_lo
	s_waitcnt lgkmcnt(0)
	v_or_b32_e32 v4, s25, v6
	v_cmpx_ne_u64_e32 0, v[3:4]
	s_xor_b32 s1, exec_lo, s0
	s_cbranch_execz .LBB0_4
; %bb.3:                                ;   in Loop: Header=BB0_2 Depth=1
	v_cvt_f32_u32_e32 v4, s24
	v_cvt_f32_u32_e32 v7, s25
	s_sub_u32 s0, 0, s24
	s_subb_u32 s26, 0, s25
	v_fmac_f32_e32 v4, 0x4f800000, v7
	v_rcp_f32_e32 v4, v4
	v_mul_f32_e32 v4, 0x5f7ffffc, v4
	v_mul_f32_e32 v7, 0x2f800000, v4
	v_trunc_f32_e32 v7, v7
	v_fmac_f32_e32 v4, 0xcf800000, v7
	v_cvt_u32_f32_e32 v7, v7
	v_cvt_u32_f32_e32 v4, v4
	v_mul_lo_u32 v8, s0, v7
	v_mul_hi_u32 v9, s0, v4
	v_mul_lo_u32 v10, s26, v4
	v_add_nc_u32_e32 v8, v9, v8
	v_mul_lo_u32 v9, s0, v4
	v_add_nc_u32_e32 v8, v8, v10
	v_mul_hi_u32 v10, v4, v9
	v_mul_lo_u32 v11, v4, v8
	v_mul_hi_u32 v12, v4, v8
	v_mul_hi_u32 v13, v7, v9
	v_mul_lo_u32 v9, v7, v9
	v_mul_hi_u32 v14, v7, v8
	v_mul_lo_u32 v8, v7, v8
	v_add_co_u32 v10, vcc_lo, v10, v11
	v_add_co_ci_u32_e32 v11, vcc_lo, 0, v12, vcc_lo
	v_add_co_u32 v9, vcc_lo, v10, v9
	v_add_co_ci_u32_e32 v9, vcc_lo, v11, v13, vcc_lo
	v_add_co_ci_u32_e32 v10, vcc_lo, 0, v14, vcc_lo
	v_add_co_u32 v8, vcc_lo, v9, v8
	v_add_co_ci_u32_e32 v9, vcc_lo, 0, v10, vcc_lo
	v_add_co_u32 v4, vcc_lo, v4, v8
	v_add_co_ci_u32_e32 v7, vcc_lo, v7, v9, vcc_lo
	v_mul_hi_u32 v8, s0, v4
	v_mul_lo_u32 v10, s26, v4
	v_mul_lo_u32 v9, s0, v7
	v_add_nc_u32_e32 v8, v8, v9
	v_mul_lo_u32 v9, s0, v4
	v_add_nc_u32_e32 v8, v8, v10
	v_mul_hi_u32 v10, v4, v9
	v_mul_lo_u32 v11, v4, v8
	v_mul_hi_u32 v12, v4, v8
	v_mul_hi_u32 v13, v7, v9
	v_mul_lo_u32 v9, v7, v9
	v_mul_hi_u32 v14, v7, v8
	v_mul_lo_u32 v8, v7, v8
	v_add_co_u32 v10, vcc_lo, v10, v11
	v_add_co_ci_u32_e32 v11, vcc_lo, 0, v12, vcc_lo
	v_add_co_u32 v9, vcc_lo, v10, v9
	v_add_co_ci_u32_e32 v9, vcc_lo, v11, v13, vcc_lo
	v_add_co_ci_u32_e32 v10, vcc_lo, 0, v14, vcc_lo
	v_add_co_u32 v8, vcc_lo, v9, v8
	v_add_co_ci_u32_e32 v9, vcc_lo, 0, v10, vcc_lo
	v_add_co_u32 v4, vcc_lo, v4, v8
	v_add_co_ci_u32_e32 v11, vcc_lo, v7, v9, vcc_lo
	v_mul_hi_u32 v13, v5, v4
	v_mad_u64_u32 v[9:10], null, v6, v4, 0
	v_mad_u64_u32 v[7:8], null, v5, v11, 0
	;; [unrolled: 1-line block ×3, first 2 shown]
	v_add_co_u32 v4, vcc_lo, v13, v7
	v_add_co_ci_u32_e32 v7, vcc_lo, 0, v8, vcc_lo
	v_add_co_u32 v4, vcc_lo, v4, v9
	v_add_co_ci_u32_e32 v4, vcc_lo, v7, v10, vcc_lo
	v_add_co_ci_u32_e32 v7, vcc_lo, 0, v12, vcc_lo
	v_add_co_u32 v4, vcc_lo, v4, v11
	v_add_co_ci_u32_e32 v9, vcc_lo, 0, v7, vcc_lo
	v_mul_lo_u32 v10, s25, v4
	v_mad_u64_u32 v[7:8], null, s24, v4, 0
	v_mul_lo_u32 v11, s24, v9
	v_sub_co_u32 v7, vcc_lo, v5, v7
	v_add3_u32 v8, v8, v11, v10
	v_sub_nc_u32_e32 v10, v6, v8
	v_subrev_co_ci_u32_e64 v10, s0, s25, v10, vcc_lo
	v_add_co_u32 v11, s0, v4, 2
	v_add_co_ci_u32_e64 v12, s0, 0, v9, s0
	v_sub_co_u32 v13, s0, v7, s24
	v_sub_co_ci_u32_e32 v8, vcc_lo, v6, v8, vcc_lo
	v_subrev_co_ci_u32_e64 v10, s0, 0, v10, s0
	v_cmp_le_u32_e32 vcc_lo, s24, v13
	v_cmp_eq_u32_e64 s0, s25, v8
	v_cndmask_b32_e64 v13, 0, -1, vcc_lo
	v_cmp_le_u32_e32 vcc_lo, s25, v10
	v_cndmask_b32_e64 v14, 0, -1, vcc_lo
	v_cmp_le_u32_e32 vcc_lo, s24, v7
	;; [unrolled: 2-line block ×3, first 2 shown]
	v_cndmask_b32_e64 v15, 0, -1, vcc_lo
	v_cmp_eq_u32_e32 vcc_lo, s25, v10
	v_cndmask_b32_e64 v7, v15, v7, s0
	v_cndmask_b32_e32 v10, v14, v13, vcc_lo
	v_add_co_u32 v13, vcc_lo, v4, 1
	v_add_co_ci_u32_e32 v14, vcc_lo, 0, v9, vcc_lo
	v_cmp_ne_u32_e32 vcc_lo, 0, v10
	v_cndmask_b32_e32 v8, v14, v12, vcc_lo
	v_cndmask_b32_e32 v10, v13, v11, vcc_lo
	v_cmp_ne_u32_e32 vcc_lo, 0, v7
	v_cndmask_b32_e32 v55, v9, v8, vcc_lo
	v_cndmask_b32_e32 v54, v4, v10, vcc_lo
.LBB0_4:                                ;   in Loop: Header=BB0_2 Depth=1
	s_andn2_saveexec_b32 s0, s1
	s_cbranch_execz .LBB0_6
; %bb.5:                                ;   in Loop: Header=BB0_2 Depth=1
	v_cvt_f32_u32_e32 v4, s24
	s_sub_i32 s1, 0, s24
	v_mov_b32_e32 v55, v3
	v_rcp_iflag_f32_e32 v4, v4
	v_mul_f32_e32 v4, 0x4f7ffffe, v4
	v_cvt_u32_f32_e32 v4, v4
	v_mul_lo_u32 v7, s1, v4
	v_mul_hi_u32 v7, v4, v7
	v_add_nc_u32_e32 v4, v4, v7
	v_mul_hi_u32 v4, v5, v4
	v_mul_lo_u32 v7, v4, s24
	v_add_nc_u32_e32 v8, 1, v4
	v_sub_nc_u32_e32 v7, v5, v7
	v_subrev_nc_u32_e32 v9, s24, v7
	v_cmp_le_u32_e32 vcc_lo, s24, v7
	v_cndmask_b32_e32 v7, v7, v9, vcc_lo
	v_cndmask_b32_e32 v4, v4, v8, vcc_lo
	v_cmp_le_u32_e32 vcc_lo, s24, v7
	v_add_nc_u32_e32 v8, 1, v4
	v_cndmask_b32_e32 v54, v4, v8, vcc_lo
.LBB0_6:                                ;   in Loop: Header=BB0_2 Depth=1
	s_or_b32 exec_lo, exec_lo, s0
	v_mul_lo_u32 v4, v55, s24
	v_mul_lo_u32 v9, v54, s25
	s_load_dwordx2 s[0:1], s[6:7], 0x0
	v_mad_u64_u32 v[7:8], null, v54, s24, 0
	s_load_dwordx2 s[24:25], s[2:3], 0x0
	s_add_u32 s22, s22, 1
	s_addc_u32 s23, s23, 0
	s_add_u32 s2, s2, 8
	s_addc_u32 s3, s3, 0
	s_add_u32 s6, s6, 8
	v_add3_u32 v4, v8, v9, v4
	v_sub_co_u32 v5, vcc_lo, v5, v7
	s_addc_u32 s7, s7, 0
	s_add_u32 s20, s20, 8
	v_sub_co_ci_u32_e32 v4, vcc_lo, v6, v4, vcc_lo
	s_addc_u32 s21, s21, 0
	s_waitcnt lgkmcnt(0)
	v_mul_lo_u32 v6, s0, v4
	v_mul_lo_u32 v7, s1, v5
	v_mad_u64_u32 v[1:2], null, s0, v5, v[1:2]
	v_mul_lo_u32 v4, s24, v4
	v_mul_lo_u32 v8, s25, v5
	v_mad_u64_u32 v[52:53], null, s24, v5, v[52:53]
	v_cmp_ge_u64_e64 s0, s[22:23], s[14:15]
	v_add3_u32 v2, v7, v2, v6
	v_add3_u32 v53, v8, v53, v4
	s_and_b32 vcc_lo, exec_lo, s0
	s_cbranch_vccnz .LBB0_9
; %bb.7:                                ;   in Loop: Header=BB0_2 Depth=1
	v_mov_b32_e32 v5, v54
	v_mov_b32_e32 v6, v55
	s_branch .LBB0_2
.LBB0_8:
	v_mov_b32_e32 v53, v2
	v_mov_b32_e32 v55, v6
	;; [unrolled: 1-line block ×4, first 2 shown]
.LBB0_9:
	s_load_dwordx2 s[0:1], s[4:5], 0x28
	v_mul_hi_u32 v3, 0x1681682, v0
	s_lshl_b64 s[4:5], s[14:15], 3
                                        ; implicit-def: $vgpr56
	s_add_u32 s2, s18, s4
	s_addc_u32 s3, s19, s5
	s_waitcnt lgkmcnt(0)
	v_cmp_gt_u64_e32 vcc_lo, s[0:1], v[54:55]
	v_cmp_le_u64_e64 s0, s[0:1], v[54:55]
	s_and_saveexec_b32 s1, s0
	s_xor_b32 s0, exec_lo, s1
; %bb.10:
	v_mul_u32_u24_e32 v1, 0xb6, v3
                                        ; implicit-def: $vgpr3
	v_sub_nc_u32_e32 v56, v0, v1
                                        ; implicit-def: $vgpr0
                                        ; implicit-def: $vgpr1_vgpr2
; %bb.11:
	s_or_saveexec_b32 s1, s0
	s_load_dwordx2 s[2:3], s[2:3], 0x0
	s_xor_b32 exec_lo, exec_lo, s1
	s_cbranch_execz .LBB0_15
; %bb.12:
	s_add_u32 s4, s16, s4
	s_addc_u32 s5, s17, s5
	v_lshlrev_b64 v[1:2], 4, v[1:2]
	s_load_dwordx2 s[4:5], s[4:5], 0x0
	s_waitcnt lgkmcnt(0)
	v_mul_lo_u32 v6, s5, v54
	v_mul_lo_u32 v7, s4, v55
	v_mad_u64_u32 v[4:5], null, s4, v54, 0
	s_mov_b32 s4, exec_lo
	v_add3_u32 v5, v5, v7, v6
	v_mul_u32_u24_e32 v6, 0xb6, v3
	v_lshlrev_b64 v[3:4], 4, v[4:5]
	v_sub_nc_u32_e32 v56, v0, v6
	v_lshlrev_b32_e32 v30, 4, v56
	v_add_co_u32 v0, s0, s8, v3
	v_add_co_ci_u32_e64 v3, s0, s9, v4, s0
	v_add_co_u32 v0, s0, v0, v1
	v_add_co_ci_u32_e64 v1, s0, v3, v2, s0
	;; [unrolled: 2-line block ×3, first 2 shown]
	v_add_nc_u32_e32 v30, 0, v30
	v_add_co_u32 v6, s0, 0x800, v2
	v_add_co_ci_u32_e64 v7, s0, 0, v3, s0
	v_add_co_u32 v10, s0, 0x1000, v2
	v_add_co_ci_u32_e64 v11, s0, 0, v3, s0
	;; [unrolled: 2-line block ×6, first 2 shown]
	s_clause 0x6
	global_load_dwordx4 v[2:5], v[2:3], off
	global_load_dwordx4 v[6:9], v[6:7], off offset:864
	global_load_dwordx4 v[10:13], v[10:11], off offset:1728
	;; [unrolled: 1-line block ×6, first 2 shown]
	s_waitcnt vmcnt(6)
	ds_write_b128 v30, v[2:5]
	s_waitcnt vmcnt(5)
	ds_write_b128 v30, v[6:9] offset:2912
	s_waitcnt vmcnt(4)
	ds_write_b128 v30, v[10:13] offset:5824
	;; [unrolled: 2-line block ×6, first 2 shown]
	v_cmpx_eq_u32_e32 0xb5, v56
	s_cbranch_execz .LBB0_14
; %bb.13:
	v_add_co_u32 v0, s0, 0x4800, v0
	v_add_co_ci_u32_e64 v1, s0, 0, v1, s0
	v_mov_b32_e32 v4, 0
	v_mov_b32_e32 v56, 0xb5
	global_load_dwordx4 v[0:3], v[0:1], off offset:1952
	s_waitcnt vmcnt(0)
	ds_write_b128 v4, v[0:3] offset:20384
.LBB0_14:
	s_or_b32 exec_lo, exec_lo, s4
.LBB0_15:
	s_or_b32 exec_lo, exec_lo, s1
	v_lshlrev_b32_e32 v0, 4, v56
	s_waitcnt lgkmcnt(0)
	s_barrier
	buffer_gl0_inv
	s_add_u32 s1, s12, 0x4f80
	v_add_nc_u32_e32 v149, 0, v0
	v_sub_nc_u32_e32 v4, 0, v0
	s_addc_u32 s4, s13, 0
	s_mov_b32 s5, exec_lo
	ds_read_b64 v[2:3], v149
	ds_read_b64 v[5:6], v4 offset:20384
	s_waitcnt lgkmcnt(0)
	v_add_f64 v[0:1], v[2:3], v[5:6]
	v_add_f64 v[2:3], v[2:3], -v[5:6]
	v_cmpx_ne_u32_e32 0, v56
	s_xor_b32 s5, exec_lo, s5
	s_cbranch_execz .LBB0_17
; %bb.16:
	v_mov_b32_e32 v57, 0
	v_lshlrev_b64 v[5:6], 4, v[56:57]
	v_add_co_u32 v5, s0, s1, v5
	v_add_co_ci_u32_e64 v6, s0, s4, v6, s0
	global_load_dwordx4 v[5:8], v[5:6], off
	ds_read_b64 v[9:10], v4 offset:20392
	ds_read_b64 v[11:12], v149 offset:8
	s_waitcnt lgkmcnt(0)
	v_add_f64 v[13:14], v[9:10], v[11:12]
	v_add_f64 v[9:10], v[11:12], -v[9:10]
	s_waitcnt vmcnt(0)
	v_fma_f64 v[11:12], v[2:3], v[7:8], v[0:1]
	v_fma_f64 v[15:16], v[13:14], v[7:8], v[9:10]
	v_fma_f64 v[0:1], -v[2:3], v[7:8], v[0:1]
	v_fma_f64 v[17:18], v[13:14], v[7:8], -v[9:10]
	v_fma_f64 v[7:8], -v[13:14], v[5:6], v[11:12]
	v_fma_f64 v[9:10], v[2:3], v[5:6], v[15:16]
	v_fma_f64 v[0:1], v[13:14], v[5:6], v[0:1]
	v_fma_f64 v[2:3], v[2:3], v[5:6], v[17:18]
	ds_write_b128 v149, v[7:10]
	ds_write_b128 v4, v[0:3] offset:20384
                                        ; implicit-def: $vgpr0_vgpr1
.LBB0_17:
	s_andn2_saveexec_b32 s0, s5
	s_cbranch_execz .LBB0_19
; %bb.18:
	v_mov_b32_e32 v5, 0
	ds_write_b128 v149, v[0:3]
	ds_read_b128 v[0:3], v5 offset:10192
	s_waitcnt lgkmcnt(0)
	v_add_f64 v[0:1], v[0:1], v[0:1]
	v_mul_f64 v[2:3], v[2:3], -2.0
	ds_write_b128 v5, v[0:3] offset:10192
.LBB0_19:
	s_or_b32 exec_lo, exec_lo, s0
	v_add_nc_u32_e32 v24, 0xb6, v56
	v_mov_b32_e32 v25, 0
	v_add_nc_u32_e32 v26, 0x16c, v56
	v_lshlrev_b64 v[0:1], 4, v[24:25]
	v_mov_b32_e32 v27, v25
	v_lshlrev_b64 v[5:6], 4, v[26:27]
	v_add_co_u32 v0, s0, s1, v0
	v_add_co_ci_u32_e64 v1, s0, s4, v1, s0
	v_add_nc_u32_e32 v27, 0x222, v56
	v_add_co_u32 v5, s0, s1, v5
	global_load_dwordx4 v[0:3], v[0:1], off
	v_add_co_ci_u32_e64 v6, s0, s4, v6, s0
	v_cmp_gt_u32_e64 s0, 0x5b, v56
	global_load_dwordx4 v[5:8], v[5:6], off
	ds_read_b128 v[9:12], v149 offset:2912
	ds_read_b128 v[13:16], v4 offset:17472
	s_waitcnt lgkmcnt(0)
	v_add_f64 v[17:18], v[9:10], v[13:14]
	v_add_f64 v[19:20], v[15:16], v[11:12]
	v_add_f64 v[21:22], v[9:10], -v[13:14]
	v_add_f64 v[9:10], v[11:12], -v[15:16]
	s_waitcnt vmcnt(1)
	v_fma_f64 v[11:12], v[21:22], v[2:3], v[17:18]
	v_fma_f64 v[13:14], v[19:20], v[2:3], v[9:10]
	v_fma_f64 v[15:16], -v[21:22], v[2:3], v[17:18]
	v_fma_f64 v[2:3], v[19:20], v[2:3], -v[9:10]
	v_fma_f64 v[9:10], -v[19:20], v[0:1], v[11:12]
	v_fma_f64 v[11:12], v[21:22], v[0:1], v[13:14]
	v_fma_f64 v[13:14], v[19:20], v[0:1], v[15:16]
	;; [unrolled: 1-line block ×3, first 2 shown]
	ds_write_b128 v149, v[9:12] offset:2912
	ds_write_b128 v4, v[13:16] offset:17472
	ds_read_b128 v[0:3], v149 offset:5824
	ds_read_b128 v[9:12], v4 offset:14560
	s_waitcnt lgkmcnt(0)
	v_add_f64 v[13:14], v[0:1], v[9:10]
	v_add_f64 v[15:16], v[11:12], v[2:3]
	v_add_f64 v[9:10], v[0:1], -v[9:10]
	v_add_f64 v[0:1], v[2:3], -v[11:12]
	s_waitcnt vmcnt(0)
	v_fma_f64 v[2:3], v[9:10], v[7:8], v[13:14]
	v_fma_f64 v[11:12], v[15:16], v[7:8], v[0:1]
	v_fma_f64 v[13:14], -v[9:10], v[7:8], v[13:14]
	v_fma_f64 v[17:18], v[15:16], v[7:8], -v[0:1]
	v_fma_f64 v[0:1], -v[15:16], v[5:6], v[2:3]
	v_fma_f64 v[2:3], v[9:10], v[5:6], v[11:12]
	v_fma_f64 v[7:8], v[15:16], v[5:6], v[13:14]
	;; [unrolled: 1-line block ×3, first 2 shown]
	ds_write_b128 v149, v[0:3] offset:5824
	ds_write_b128 v4, v[7:10] offset:14560
	s_and_saveexec_b32 s5, s0
	s_cbranch_execz .LBB0_21
; %bb.20:
	v_mov_b32_e32 v28, v25
	v_lshlrev_b64 v[0:1], 4, v[27:28]
	v_add_co_u32 v0, s1, s1, v0
	v_add_co_ci_u32_e64 v1, s1, s4, v1, s1
	global_load_dwordx4 v[0:3], v[0:1], off
	ds_read_b128 v[5:8], v149 offset:8736
	ds_read_b128 v[9:12], v4 offset:11648
	s_waitcnt lgkmcnt(0)
	v_add_f64 v[13:14], v[5:6], v[9:10]
	v_add_f64 v[15:16], v[11:12], v[7:8]
	v_add_f64 v[17:18], v[5:6], -v[9:10]
	v_add_f64 v[5:6], v[7:8], -v[11:12]
	s_waitcnt vmcnt(0)
	v_fma_f64 v[7:8], v[17:18], v[2:3], v[13:14]
	v_fma_f64 v[9:10], v[15:16], v[2:3], v[5:6]
	v_fma_f64 v[11:12], -v[17:18], v[2:3], v[13:14]
	v_fma_f64 v[2:3], v[15:16], v[2:3], -v[5:6]
	v_fma_f64 v[5:6], -v[15:16], v[0:1], v[7:8]
	v_fma_f64 v[7:8], v[17:18], v[0:1], v[9:10]
	v_fma_f64 v[9:10], v[15:16], v[0:1], v[11:12]
	;; [unrolled: 1-line block ×3, first 2 shown]
	ds_write_b128 v149, v[5:8] offset:8736
	ds_write_b128 v4, v[9:12] offset:11648
.LBB0_21:
	s_or_b32 exec_lo, exec_lo, s5
	s_waitcnt lgkmcnt(0)
	s_barrier
	buffer_gl0_inv
	s_barrier
	buffer_gl0_inv
	ds_read_b128 v[0:3], v149 offset:10192
	ds_read_b128 v[8:11], v149
	ds_read_b128 v[16:19], v149 offset:2912
	ds_read_b128 v[12:15], v149 offset:13104
	;; [unrolled: 1-line block ×6, first 2 shown]
	v_lshl_add_u32 v25, v56, 4, v149
	v_lshl_add_u32 v24, v24, 5, 0
	;; [unrolled: 1-line block ×3, first 2 shown]
	s_waitcnt lgkmcnt(0)
	s_barrier
	buffer_gl0_inv
	v_add_f64 v[4:5], v[8:9], -v[0:1]
	v_add_f64 v[6:7], v[10:11], -v[2:3]
	;; [unrolled: 1-line block ×8, first 2 shown]
	v_fma_f64 v[0:1], v[8:9], 2.0, -v[4:5]
	v_fma_f64 v[2:3], v[10:11], 2.0, -v[6:7]
	v_fma_f64 v[8:9], v[16:17], 2.0, -v[12:13]
	v_fma_f64 v[10:11], v[18:19], 2.0, -v[14:15]
	v_fma_f64 v[16:17], v[28:29], 2.0, -v[20:21]
	v_fma_f64 v[18:19], v[30:31], 2.0, -v[22:23]
	v_fma_f64 v[48:49], v[36:37], 2.0, -v[32:33]
	v_fma_f64 v[50:51], v[38:39], 2.0, -v[34:35]
	ds_write_b128 v25, v[4:7] offset:16
	ds_write_b128 v24, v[12:15] offset:16
	ds_write_b128 v25, v[0:3]
	ds_write_b128 v24, v[8:11]
	;; [unrolled: 1-line block ×3, first 2 shown]
	ds_write_b128 v26, v[20:23] offset:16
	s_and_saveexec_b32 s1, s0
	s_cbranch_execz .LBB0_23
; %bb.22:
	v_lshl_add_u32 v24, v27, 5, 0
	ds_write_b128 v24, v[48:51]
	ds_write_b128 v24, v[32:35] offset:16
.LBB0_23:
	s_or_b32 exec_lo, exec_lo, s1
	v_cmp_gt_u32_e64 s0, 0x62, v56
	s_waitcnt lgkmcnt(0)
	s_barrier
	buffer_gl0_inv
                                        ; implicit-def: $vgpr30_vgpr31
                                        ; implicit-def: $vgpr26_vgpr27
                                        ; implicit-def: $vgpr42_vgpr43
                                        ; implicit-def: $vgpr38_vgpr39
                                        ; implicit-def: $vgpr46_vgpr47
	s_and_saveexec_b32 s1, s0
	s_cbranch_execz .LBB0_25
; %bb.24:
	ds_read_b128 v[0:3], v149
	ds_read_b128 v[4:7], v149 offset:1568
	ds_read_b128 v[8:11], v149 offset:3136
	;; [unrolled: 1-line block ×12, first 2 shown]
.LBB0_25:
	s_or_b32 exec_lo, exec_lo, s1
	s_waitcnt lgkmcnt(0)
	s_barrier
	buffer_gl0_inv
	s_and_saveexec_b32 s33, s0
	s_cbranch_execz .LBB0_27
; %bb.26:
	v_and_b32_e32 v150, 1, v56
	s_mov_b32 s30, 0x42a4c3d2
	s_mov_b32 s31, 0x3fea55e2
	;; [unrolled: 1-line block ×4, first 2 shown]
	v_mul_u32_u24_e32 v57, 12, v150
	s_mov_b32 s35, 0x3fddbe06
	s_mov_b32 s34, 0x4267c47c
	;; [unrolled: 1-line block ×4, first 2 shown]
	v_lshlrev_b32_e32 v75, 4, v57
	s_mov_b32 s8, 0x1ea71119
	s_mov_b32 s14, 0x24c2f84
	;; [unrolled: 1-line block ×4, first 2 shown]
	s_clause 0x1
	global_load_dwordx4 v[59:62], v75, s[12:13] offset:80
	global_load_dwordx4 v[67:70], v75, s[12:13] offset:64
	s_mov_b32 s17, 0xbfedeba7
	s_mov_b32 s9, 0x3fe22d96
	;; [unrolled: 1-line block ×18, first 2 shown]
	s_waitcnt vmcnt(1)
	v_mul_f64 v[57:58], v[50:51], v[61:62]
	v_fma_f64 v[57:58], v[48:49], v[59:60], v[57:58]
	v_mul_f64 v[48:49], v[48:49], v[61:62]
	s_clause 0x1
	global_load_dwordx4 v[61:64], v75, s[12:13] offset:96
	global_load_dwordx4 v[71:74], v75, s[12:13] offset:112
	v_fma_f64 v[48:49], v[50:51], v[59:60], -v[48:49]
	s_waitcnt vmcnt(1)
	v_mul_f64 v[50:51], v[34:35], v[63:64]
	v_fma_f64 v[59:60], v[32:33], v[61:62], v[50:51]
	v_mul_f64 v[32:33], v[32:33], v[63:64]
	v_add_f64 v[87:88], v[57:58], -v[59:60]
	v_fma_f64 v[61:62], v[34:35], v[61:62], -v[32:33]
	v_mul_f64 v[32:33], v[22:23], v[69:70]
	v_mul_f64 v[105:106], v[87:88], s[34:35]
	v_add_f64 v[91:92], v[48:49], -v[61:62]
	v_fma_f64 v[65:66], v[20:21], v[67:68], v[32:33]
	v_mul_f64 v[20:21], v[20:21], v[69:70]
	v_mul_f64 v[177:178], v[87:88], s[24:25]
	;; [unrolled: 1-line block ×4, first 2 shown]
	v_fma_f64 v[67:68], v[22:23], v[67:68], -v[20:21]
	s_waitcnt vmcnt(0)
	v_mul_f64 v[20:21], v[46:47], v[73:74]
	v_fma_f64 v[50:51], v[44:45], v[71:72], v[20:21]
	v_mul_f64 v[20:21], v[44:45], v[73:74]
	v_add_f64 v[89:90], v[65:66], -v[50:51]
	v_fma_f64 v[46:47], v[46:47], v[71:72], -v[20:21]
	s_clause 0x1
	global_load_dwordx4 v[20:23], v75, s[12:13] offset:48
	global_load_dwordx4 v[32:35], v75, s[12:13] offset:32
	v_add_f64 v[85:86], v[67:68], -v[46:47]
	v_mul_f64 v[173:174], v[85:86], s[16:17]
	s_waitcnt vmcnt(1)
	v_mul_f64 v[44:45], v[18:19], v[22:23]
	v_fma_f64 v[69:70], v[16:17], v[20:21], v[44:45]
	v_mul_f64 v[16:17], v[16:17], v[22:23]
	v_fma_f64 v[71:72], v[18:19], v[20:21], -v[16:17]
	s_clause 0x1
	global_load_dwordx4 v[16:19], v75, s[12:13] offset:128
	global_load_dwordx4 v[20:23], v75, s[12:13] offset:144
	s_waitcnt vmcnt(1)
	v_mul_f64 v[44:45], v[38:39], v[18:19]
	v_mul_f64 v[18:19], v[36:37], v[18:19]
	v_fma_f64 v[44:45], v[36:37], v[16:17], v[44:45]
	v_fma_f64 v[36:37], v[38:39], v[16:17], -v[18:19]
	v_mul_f64 v[16:17], v[14:15], v[34:35]
	v_add_f64 v[95:96], v[69:70], -v[44:45]
	v_add_f64 v[93:94], v[71:72], -v[36:37]
	v_fma_f64 v[77:78], v[12:13], v[32:33], v[16:17]
	v_mul_f64 v[12:13], v[12:13], v[34:35]
	v_fma_f64 v[79:80], v[14:15], v[32:33], -v[12:13]
	s_waitcnt vmcnt(0)
	v_mul_f64 v[12:13], v[42:43], v[22:23]
	v_fma_f64 v[38:39], v[40:41], v[20:21], v[12:13]
	v_mul_f64 v[12:13], v[40:41], v[22:23]
	v_add_f64 v[99:100], v[77:78], -v[38:39]
	v_fma_f64 v[40:41], v[42:43], v[20:21], -v[12:13]
	s_clause 0x1
	global_load_dwordx4 v[12:15], v75, s[12:13] offset:16
	global_load_dwordx4 v[16:19], v75, s[12:13]
	v_mul_f64 v[22:23], v[99:100], s[34:35]
	v_add_f64 v[97:98], v[79:80], -v[40:41]
	s_waitcnt vmcnt(1)
	v_mul_f64 v[20:21], v[10:11], v[14:15]
	v_fma_f64 v[81:82], v[8:9], v[12:13], v[20:21]
	v_mul_f64 v[8:9], v[8:9], v[14:15]
	v_fma_f64 v[83:84], v[10:11], v[12:13], -v[8:9]
	s_clause 0x1
	global_load_dwordx4 v[8:11], v75, s[12:13] offset:160
	global_load_dwordx4 v[12:15], v75, s[12:13] offset:176
	s_waitcnt vmcnt(1)
	v_mul_f64 v[20:21], v[26:27], v[10:11]
	v_mul_f64 v[10:11], v[24:25], v[10:11]
	v_fma_f64 v[73:74], v[24:25], v[8:9], v[20:21]
	v_fma_f64 v[75:76], v[26:27], v[8:9], -v[10:11]
	v_mul_f64 v[8:9], v[6:7], v[18:19]
	v_mul_f64 v[20:21], v[97:98], s[34:35]
	v_add_f64 v[103:104], v[81:82], -v[73:74]
	v_add_f64 v[101:102], v[83:84], -v[75:76]
	v_fma_f64 v[8:9], v[4:5], v[16:17], v[8:9]
	v_mul_f64 v[4:5], v[4:5], v[18:19]
	v_mul_f64 v[10:11], v[101:102], s[34:35]
	v_fma_f64 v[4:5], v[6:7], v[16:17], -v[4:5]
	s_waitcnt vmcnt(0)
	v_mul_f64 v[6:7], v[30:31], v[14:15]
	v_fma_f64 v[42:43], v[28:29], v[12:13], v[6:7]
	v_mul_f64 v[6:7], v[28:29], v[14:15]
	v_mul_f64 v[14:15], v[85:86], s[34:35]
	;; [unrolled: 1-line block ×3, first 2 shown]
	v_add_f64 v[16:17], v[8:9], -v[42:43]
	v_fma_f64 v[63:64], v[30:31], v[12:13], -v[6:7]
	v_mul_f64 v[6:7], v[103:104], s[34:35]
	v_mul_f64 v[12:13], v[89:90], s[34:35]
	;; [unrolled: 1-line block ×3, first 2 shown]
	s_mov_b32 s35, 0xbfddbe06
	v_add_f64 v[133:134], v[8:9], v[42:43]
	v_mul_f64 v[34:35], v[16:17], s[28:29]
	v_add_f64 v[109:110], v[4:5], v[63:64]
	v_mul_f64 v[18:19], v[16:17], s[20:21]
	v_mul_f64 v[24:25], v[16:17], s[14:15]
	;; [unrolled: 1-line block ×5, first 2 shown]
	v_fma_f64 v[121:122], v[109:110], s[8:9], v[34:35]
	v_fma_f64 v[123:124], v[109:110], s[8:9], -v[34:35]
	v_add_f64 v[34:35], v[4:5], -v[63:64]
	v_fma_f64 v[113:114], v[109:110], s[18:19], v[18:19]
	v_fma_f64 v[18:19], v[109:110], s[18:19], -v[18:19]
	v_fma_f64 v[115:116], v[109:110], s[4:5], v[24:25]
	v_fma_f64 v[24:25], v[109:110], s[4:5], -v[24:25]
	;; [unrolled: 2-line block ×5, first 2 shown]
	v_mul_f64 v[109:110], v[34:35], s[20:21]
	v_mul_f64 v[111:112], v[34:35], s[14:15]
	;; [unrolled: 1-line block ×6, first 2 shown]
	v_add_f64 v[163:164], v[2:3], v[117:118]
	v_add_f64 v[117:118], v[83:84], v[75:76]
	;; [unrolled: 1-line block ×9, first 2 shown]
	s_mov_b32 s35, 0x3fcea1e5
	s_mov_b32 s34, s20
	v_fma_f64 v[135:136], v[133:134], s[18:19], -v[109:110]
	v_fma_f64 v[137:138], v[133:134], s[18:19], v[109:110]
	v_fma_f64 v[139:140], v[133:134], s[4:5], -v[111:112]
	v_fma_f64 v[141:142], v[133:134], s[4:5], v[111:112]
	v_fma_f64 v[143:144], v[133:134], s[0:1], -v[127:128]
	v_fma_f64 v[127:128], v[133:134], s[0:1], v[127:128]
	v_fma_f64 v[145:146], v[133:134], s[6:7], -v[129:130]
	v_fma_f64 v[129:130], v[133:134], s[6:7], v[129:130]
	v_fma_f64 v[151:152], v[133:134], s[8:9], -v[131:132]
	v_fma_f64 v[131:132], v[133:134], s[8:9], v[131:132]
	v_fma_f64 v[153:154], v[133:134], s[22:23], -v[34:35]
	v_fma_f64 v[133:134], v[133:134], s[22:23], v[34:35]
	v_add_f64 v[111:112], v[2:3], v[4:5]
	v_add_f64 v[109:110], v[0:1], v[8:9]
	v_add_f64 v[4:5], v[2:3], v[113:114]
	v_add_f64 v[34:35], v[2:3], v[121:122]
	v_add_f64 v[113:114], v[2:3], v[16:17]
	v_add_f64 v[121:122], v[79:80], v[40:41]
	v_add_f64 v[8:9], v[0:1], v[135:136]
	v_add_f64 v[155:156], v[0:1], v[137:138]
	v_add_f64 v[159:160], v[0:1], v[139:140]
	v_add_f64 v[161:162], v[0:1], v[141:142]
	v_add_f64 v[165:166], v[0:1], v[143:144]
	v_add_f64 v[167:168], v[0:1], v[127:128]
	v_add_f64 v[171:172], v[0:1], v[145:146]
	v_add_f64 v[145:146], v[0:1], v[129:130]
	v_add_f64 v[32:33], v[0:1], v[151:152]
	v_add_f64 v[141:142], v[0:1], v[131:132]
	v_add_f64 v[137:138], v[0:1], v[153:154]
	v_add_f64 v[115:116], v[0:1], v[133:134]
	v_fma_f64 v[0:1], v[117:118], s[22:23], v[6:7]
	v_add_f64 v[143:144], v[2:3], v[123:124]
	v_add_f64 v[139:140], v[2:3], v[125:126]
	v_fma_f64 v[2:3], v[119:120], s[22:23], -v[10:11]
	v_add_f64 v[123:124], v[77:78], v[38:39]
	v_add_f64 v[125:126], v[71:72], v[36:37]
	v_mul_f64 v[151:152], v[93:94], s[30:31]
	v_fma_f64 v[6:7], v[117:118], s[22:23], -v[6:7]
	v_mul_f64 v[153:154], v[89:90], s[16:17]
	v_fma_f64 v[10:11], v[119:120], s[22:23], v[10:11]
	v_add_f64 v[135:136], v[57:58], v[59:60]
	v_add_f64 v[83:84], v[111:112], v[83:84]
	;; [unrolled: 1-line block ×4, first 2 shown]
	v_mul_f64 v[4:5], v[99:100], s[14:15]
	v_add_f64 v[2:3], v[2:3], v[8:9]
	v_add_f64 v[6:7], v[6:7], v[18:19]
	v_mul_f64 v[18:19], v[101:102], s[24:25]
	v_add_f64 v[10:11], v[10:11], v[155:156]
	v_add_f64 v[79:80], v[83:84], v[79:80]
	v_add_f64 v[77:78], v[81:82], v[77:78]
	v_fma_f64 v[8:9], v[121:122], s[4:5], v[4:5]
	v_fma_f64 v[4:5], v[121:122], s[4:5], -v[4:5]
	v_add_f64 v[71:72], v[79:80], v[71:72]
	v_add_f64 v[0:1], v[8:9], v[0:1]
	v_mul_f64 v[8:9], v[97:98], s[14:15]
	v_add_f64 v[4:5], v[4:5], v[6:7]
	v_fma_f64 v[16:17], v[123:124], s[4:5], -v[8:9]
	v_fma_f64 v[6:7], v[123:124], s[4:5], v[8:9]
	v_add_f64 v[2:3], v[16:17], v[2:3]
	v_mul_f64 v[16:17], v[95:96], s[30:31]
	v_add_f64 v[6:7], v[6:7], v[10:11]
	v_fma_f64 v[10:11], v[135:136], s[6:7], v[179:180]
	v_fma_f64 v[127:128], v[125:126], s[8:9], v[16:17]
	v_fma_f64 v[8:9], v[125:126], s[8:9], -v[16:17]
	v_mul_f64 v[16:17], v[103:104], s[24:25]
	v_add_f64 v[0:1], v[127:128], v[0:1]
	v_add_f64 v[127:128], v[69:70], v[44:45]
	;; [unrolled: 1-line block ×4, first 2 shown]
	v_fma_f64 v[129:130], v[127:128], s[8:9], -v[151:152]
	v_fma_f64 v[8:9], v[127:128], s[8:9], v[151:152]
	v_mul_f64 v[151:152], v[99:100], s[28:29]
	v_add_f64 v[2:3], v[129:130], v[2:3]
	v_add_f64 v[129:130], v[67:68], v[46:47]
	v_add_f64 v[6:7], v[8:9], v[6:7]
	v_add_f64 v[67:68], v[71:72], v[67:68]
	v_fma_f64 v[131:132], v[129:130], s[0:1], v[153:154]
	v_fma_f64 v[8:9], v[129:130], s[0:1], -v[153:154]
	v_fma_f64 v[153:154], v[121:122], s[8:9], v[151:152]
	v_add_f64 v[0:1], v[131:132], v[0:1]
	v_add_f64 v[131:132], v[65:66], v[50:51]
	;; [unrolled: 1-line block ×4, first 2 shown]
	v_fma_f64 v[133:134], v[131:132], s[0:1], -v[173:174]
	v_fma_f64 v[8:9], v[131:132], s[0:1], v[173:174]
	v_mul_f64 v[173:174], v[87:88], s[16:17]
	v_add_f64 v[57:58], v[65:66], v[57:58]
	v_add_f64 v[175:176], v[133:134], v[2:3]
	;; [unrolled: 1-line block ×6, first 2 shown]
	v_fma_f64 v[6:7], v[133:134], s[6:7], -v[177:178]
	v_fma_f64 v[2:3], v[133:134], s[6:7], v[177:178]
	v_add_f64 v[48:49], v[48:49], v[61:62]
	v_add_f64 v[6:7], v[6:7], v[4:5]
	;; [unrolled: 1-line block ×3, first 2 shown]
	v_fma_f64 v[8:9], v[117:118], s[6:7], v[16:17]
	v_fma_f64 v[10:11], v[119:120], s[6:7], -v[18:19]
	v_fma_f64 v[16:17], v[117:118], s[6:7], -v[16:17]
	v_fma_f64 v[18:19], v[119:120], s[6:7], v[18:19]
	v_add_f64 v[2:3], v[2:3], v[0:1]
	v_fma_f64 v[0:1], v[135:136], s[6:7], -v[179:180]
	v_add_f64 v[46:47], v[48:49], v[46:47]
	v_add_f64 v[48:49], v[57:58], v[50:51]
	;; [unrolled: 1-line block ×5, first 2 shown]
	v_fma_f64 v[24:25], v[121:122], s[8:9], -v[151:152]
	v_add_f64 v[18:19], v[18:19], v[161:162]
	v_add_f64 v[0:1], v[0:1], v[175:176]
	v_mul_f64 v[175:176], v[91:92], s[16:17]
	v_mul_f64 v[151:152], v[101:102], s[36:37]
	v_add_f64 v[36:37], v[46:47], v[36:37]
	v_add_f64 v[44:45], v[48:49], v[44:45]
	;; [unrolled: 1-line block ×3, first 2 shown]
	v_mul_f64 v[153:154], v[97:98], s[28:29]
	v_add_f64 v[16:17], v[24:25], v[16:17]
	v_add_f64 v[36:37], v[36:37], v[40:41]
	v_add_f64 v[38:39], v[44:45], v[38:39]
	v_fma_f64 v[155:156], v[123:124], s[8:9], -v[153:154]
	v_fma_f64 v[24:25], v[123:124], s[8:9], v[153:154]
	v_fma_f64 v[153:154], v[121:122], s[22:23], v[22:23]
	v_fma_f64 v[22:23], v[121:122], s[22:23], -v[22:23]
	v_add_f64 v[36:37], v[36:37], v[75:76]
	v_add_f64 v[40:41], v[38:39], v[73:74]
	;; [unrolled: 1-line block ×3, first 2 shown]
	v_mul_f64 v[155:156], v[95:96], s[34:35]
	v_add_f64 v[18:19], v[24:25], v[18:19]
	v_add_f64 v[38:39], v[36:37], v[63:64]
	;; [unrolled: 1-line block ×3, first 2 shown]
	v_lshrrev_b32_e32 v40, 1, v56
	v_mul_u32_u24_e32 v40, 26, v40
	v_or_b32_e32 v40, v40, v150
	v_fma_f64 v[157:158], v[125:126], s[18:19], v[155:156]
	v_fma_f64 v[24:25], v[125:126], s[18:19], -v[155:156]
	v_lshl_add_u32 v40, v40, 4, 0
	v_add_f64 v[8:9], v[157:158], v[8:9]
	v_mul_f64 v[157:158], v[93:94], s[34:35]
	v_add_f64 v[16:17], v[24:25], v[16:17]
	v_fma_f64 v[159:160], v[127:128], s[18:19], -v[157:158]
	v_fma_f64 v[24:25], v[127:128], s[18:19], v[157:158]
	v_add_f64 v[10:11], v[159:160], v[10:11]
	v_fma_f64 v[159:160], v[129:130], s[22:23], v[12:13]
	v_add_f64 v[18:19], v[24:25], v[18:19]
	v_fma_f64 v[12:13], v[129:130], s[22:23], -v[12:13]
	v_mul_f64 v[24:25], v[103:104], s[36:37]
	v_add_f64 v[8:9], v[159:160], v[8:9]
	v_fma_f64 v[159:160], v[131:132], s[22:23], -v[14:15]
	v_fma_f64 v[14:15], v[131:132], s[22:23], v[14:15]
	v_add_f64 v[12:13], v[12:13], v[16:17]
	v_add_f64 v[159:160], v[159:160], v[10:11]
	;; [unrolled: 1-line block ×3, first 2 shown]
	v_fma_f64 v[14:15], v[133:134], s[0:1], -v[173:174]
	v_fma_f64 v[18:19], v[135:136], s[0:1], v[175:176]
	v_fma_f64 v[10:11], v[133:134], s[0:1], v[173:174]
	v_add_f64 v[14:15], v[14:15], v[12:13]
	v_add_f64 v[12:13], v[18:19], v[16:17]
	v_fma_f64 v[16:17], v[117:118], s[4:5], v[24:25]
	v_fma_f64 v[18:19], v[119:120], s[4:5], -v[151:152]
	v_fma_f64 v[24:25], v[117:118], s[4:5], -v[24:25]
	v_add_f64 v[10:11], v[10:11], v[8:9]
	v_fma_f64 v[8:9], v[135:136], s[0:1], -v[175:176]
	v_add_f64 v[16:17], v[16:17], v[163:164]
	v_add_f64 v[18:19], v[18:19], v[165:166]
	;; [unrolled: 1-line block ×3, first 2 shown]
	v_fma_f64 v[26:27], v[119:120], s[4:5], v[151:152]
	v_add_f64 v[8:9], v[8:9], v[159:160]
	v_mul_f64 v[163:164], v[87:88], s[30:31]
	v_mul_f64 v[151:152], v[103:104], s[20:21]
	;; [unrolled: 1-line block ×3, first 2 shown]
	s_mov_b32 s31, 0x3fedeba7
	s_mov_b32 s30, s16
	v_add_f64 v[16:17], v[153:154], v[16:17]
	v_fma_f64 v[153:154], v[123:124], s[22:23], -v[20:21]
	v_add_f64 v[22:23], v[22:23], v[24:25]
	v_add_f64 v[26:27], v[26:27], v[167:168]
	v_fma_f64 v[20:21], v[123:124], s[22:23], v[20:21]
	v_mul_f64 v[167:168], v[91:92], s[14:15]
	v_mul_f64 v[91:92], v[91:92], s[20:21]
	v_add_f64 v[18:19], v[153:154], v[18:19]
	v_mul_f64 v[153:154], v[95:96], s[26:27]
	v_add_f64 v[20:21], v[20:21], v[26:27]
	v_fma_f64 v[26:27], v[135:136], s[8:9], v[165:166]
	v_fma_f64 v[155:156], v[125:126], s[6:7], v[153:154]
	v_fma_f64 v[24:25], v[125:126], s[6:7], -v[153:154]
	v_mul_f64 v[153:154], v[101:102], s[20:21]
	v_add_f64 v[16:17], v[155:156], v[16:17]
	v_mul_f64 v[155:156], v[93:94], s[26:27]
	v_add_f64 v[22:23], v[24:25], v[22:23]
	v_fma_f64 v[157:158], v[127:128], s[6:7], -v[155:156]
	v_fma_f64 v[24:25], v[127:128], s[6:7], v[155:156]
	v_mul_f64 v[155:156], v[99:100], s[30:31]
	v_add_f64 v[18:19], v[157:158], v[18:19]
	v_mul_f64 v[157:158], v[89:90], s[34:35]
	v_add_f64 v[20:21], v[24:25], v[20:21]
	v_fma_f64 v[159:160], v[129:130], s[18:19], v[157:158]
	v_fma_f64 v[24:25], v[129:130], s[18:19], -v[157:158]
	v_fma_f64 v[157:158], v[121:122], s[0:1], v[155:156]
	v_add_f64 v[16:17], v[159:160], v[16:17]
	v_mul_f64 v[159:160], v[85:86], s[34:35]
	v_add_f64 v[22:23], v[24:25], v[22:23]
	v_fma_f64 v[24:25], v[131:132], s[18:19], v[159:160]
	v_fma_f64 v[161:162], v[131:132], s[18:19], -v[159:160]
	v_add_f64 v[20:21], v[24:25], v[20:21]
	v_fma_f64 v[24:25], v[133:134], s[8:9], -v[163:164]
	v_add_f64 v[161:162], v[161:162], v[18:19]
	v_fma_f64 v[18:19], v[133:134], s[8:9], v[163:164]
	v_add_f64 v[20:21], v[26:27], v[20:21]
	v_add_f64 v[22:23], v[24:25], v[22:23]
	v_fma_f64 v[24:25], v[117:118], s[18:19], v[151:152]
	v_fma_f64 v[26:27], v[119:120], s[18:19], -v[153:154]
	v_fma_f64 v[151:152], v[117:118], s[18:19], -v[151:152]
	v_add_f64 v[18:19], v[18:19], v[16:17]
	v_fma_f64 v[16:17], v[135:136], s[8:9], -v[165:166]
	v_mul_f64 v[165:166], v[87:88], s[14:15]
	v_add_f64 v[24:25], v[24:25], v[169:170]
	v_add_f64 v[26:27], v[26:27], v[171:172]
	;; [unrolled: 1-line block ×3, first 2 shown]
	v_fma_f64 v[151:152], v[119:120], s[18:19], v[153:154]
	v_add_f64 v[16:17], v[16:17], v[161:162]
	v_add_f64 v[24:25], v[157:158], v[24:25]
	v_mul_f64 v[157:158], v[97:98], s[30:31]
	v_add_f64 v[145:146], v[151:152], v[145:146]
	v_fma_f64 v[151:152], v[121:122], s[0:1], -v[155:156]
	v_fma_f64 v[159:160], v[123:124], s[0:1], -v[157:158]
	v_add_f64 v[147:148], v[151:152], v[147:148]
	v_fma_f64 v[151:152], v[123:124], s[0:1], v[157:158]
	v_add_f64 v[26:27], v[159:160], v[26:27]
	v_fma_f64 v[159:160], v[125:126], s[22:23], v[30:31]
	v_fma_f64 v[30:31], v[125:126], s[22:23], -v[30:31]
	v_add_f64 v[145:146], v[151:152], v[145:146]
	v_add_f64 v[24:25], v[159:160], v[24:25]
	v_fma_f64 v[159:160], v[127:128], s[22:23], -v[28:29]
	v_fma_f64 v[28:29], v[127:128], s[22:23], v[28:29]
	v_add_f64 v[30:31], v[30:31], v[147:148]
	v_fma_f64 v[147:148], v[135:136], s[4:5], v[167:168]
	v_add_f64 v[26:27], v[159:160], v[26:27]
	v_mul_f64 v[159:160], v[89:90], s[28:29]
	v_add_f64 v[28:29], v[28:29], v[145:146]
	v_fma_f64 v[161:162], v[129:130], s[8:9], v[159:160]
	v_fma_f64 v[145:146], v[129:130], s[8:9], -v[159:160]
	v_add_f64 v[24:25], v[161:162], v[24:25]
	v_mul_f64 v[161:162], v[85:86], s[28:29]
	v_add_f64 v[30:31], v[145:146], v[30:31]
	v_fma_f64 v[145:146], v[131:132], s[8:9], v[161:162]
	v_fma_f64 v[163:164], v[131:132], s[8:9], -v[161:162]
	v_add_f64 v[28:29], v[145:146], v[28:29]
	v_fma_f64 v[145:146], v[133:134], s[4:5], -v[165:166]
	v_add_f64 v[163:164], v[163:164], v[26:27]
	v_fma_f64 v[26:27], v[133:134], s[4:5], v[165:166]
	v_add_f64 v[28:29], v[147:148], v[28:29]
	v_add_f64 v[30:31], v[145:146], v[30:31]
	v_mul_f64 v[145:146], v[103:104], s[16:17]
	v_add_f64 v[26:27], v[26:27], v[24:25]
	v_fma_f64 v[24:25], v[135:136], s[4:5], -v[167:168]
	v_mul_f64 v[103:104], v[103:104], s[28:29]
	v_fma_f64 v[147:148], v[117:118], s[0:1], v[145:146]
	v_fma_f64 v[145:146], v[117:118], s[0:1], -v[145:146]
	v_add_f64 v[24:25], v[24:25], v[163:164]
	v_add_f64 v[34:35], v[147:148], v[34:35]
	v_mul_f64 v[147:148], v[101:102], s[16:17]
	v_add_f64 v[143:144], v[145:146], v[143:144]
	v_mul_f64 v[101:102], v[101:102], s[28:29]
	v_fma_f64 v[151:152], v[119:120], s[0:1], -v[147:148]
	v_fma_f64 v[145:146], v[119:120], s[0:1], v[147:148]
	v_add_f64 v[32:33], v[151:152], v[32:33]
	v_mul_f64 v[151:152], v[99:100], s[20:21]
	v_add_f64 v[141:142], v[145:146], v[141:142]
	v_mul_f64 v[99:100], v[99:100], s[26:27]
	v_fma_f64 v[153:154], v[121:122], s[18:19], v[151:152]
	v_fma_f64 v[145:146], v[121:122], s[18:19], -v[151:152]
	v_add_f64 v[34:35], v[153:154], v[34:35]
	v_mul_f64 v[153:154], v[97:98], s[20:21]
	v_add_f64 v[143:144], v[145:146], v[143:144]
	v_mul_f64 v[97:98], v[97:98], s[26:27]
	v_fma_f64 v[155:156], v[123:124], s[18:19], -v[153:154]
	v_fma_f64 v[145:146], v[123:124], s[18:19], v[153:154]
	v_add_f64 v[32:33], v[155:156], v[32:33]
	v_mul_f64 v[155:156], v[95:96], s[36:37]
	v_add_f64 v[141:142], v[145:146], v[141:142]
	v_mul_f64 v[95:96], v[95:96], s[16:17]
	v_fma_f64 v[157:158], v[125:126], s[4:5], v[155:156]
	v_fma_f64 v[145:146], v[125:126], s[4:5], -v[155:156]
	;; [unrolled: 12-line block ×3, first 2 shown]
	v_add_f64 v[34:35], v[161:162], v[34:35]
	v_mul_f64 v[161:162], v[85:86], s[24:25]
	v_add_f64 v[143:144], v[145:146], v[143:144]
	v_fma_f64 v[163:164], v[131:132], s[6:7], -v[161:162]
	v_fma_f64 v[145:146], v[131:132], s[6:7], v[161:162]
	v_add_f64 v[32:33], v[163:164], v[32:33]
	v_fma_f64 v[163:164], v[133:134], s[22:23], v[105:106]
	v_add_f64 v[141:142], v[145:146], v[141:142]
	v_fma_f64 v[105:106], v[133:134], s[22:23], -v[105:106]
	v_fma_f64 v[145:146], v[135:136], s[22:23], v[107:108]
	v_add_f64 v[34:35], v[163:164], v[34:35]
	v_fma_f64 v[163:164], v[135:136], s[22:23], -v[107:108]
	v_add_f64 v[107:108], v[105:106], v[143:144]
	v_add_f64 v[105:106], v[145:146], v[141:142]
	v_fma_f64 v[141:142], v[117:118], s[8:9], v[103:104]
	v_fma_f64 v[103:104], v[117:118], s[8:9], -v[103:104]
	v_add_f64 v[32:33], v[163:164], v[32:33]
	v_add_f64 v[139:140], v[141:142], v[139:140]
	v_fma_f64 v[141:142], v[119:120], s[8:9], -v[101:102]
	v_fma_f64 v[101:102], v[119:120], s[8:9], v[101:102]
	v_add_f64 v[103:104], v[103:104], v[113:114]
	v_add_f64 v[137:138], v[141:142], v[137:138]
	v_fma_f64 v[141:142], v[121:122], s[6:7], v[99:100]
	v_fma_f64 v[99:100], v[121:122], s[6:7], -v[99:100]
	v_add_f64 v[101:102], v[101:102], v[115:116]
	v_add_f64 v[139:140], v[141:142], v[139:140]
	v_fma_f64 v[141:142], v[123:124], s[6:7], -v[97:98]
	v_fma_f64 v[97:98], v[123:124], s[6:7], v[97:98]
	;; [unrolled: 8-line block ×3, first 2 shown]
	v_add_f64 v[95:96], v[95:96], v[99:100]
	v_fma_f64 v[99:100], v[135:136], s[18:19], v[91:92]
	v_add_f64 v[137:138], v[141:142], v[137:138]
	v_fma_f64 v[141:142], v[129:130], s[4:5], v[89:90]
	v_fma_f64 v[89:90], v[129:130], s[4:5], -v[89:90]
	v_add_f64 v[93:94], v[93:94], v[97:98]
	v_add_f64 v[139:140], v[141:142], v[139:140]
	v_mul_f64 v[141:142], v[85:86], s[14:15]
	v_add_f64 v[89:90], v[89:90], v[95:96]
	v_fma_f64 v[85:86], v[131:132], s[4:5], -v[141:142]
	v_fma_f64 v[101:102], v[131:132], s[4:5], v[141:142]
	v_add_f64 v[85:86], v[85:86], v[137:138]
	v_mul_f64 v[137:138], v[87:88], s[20:21]
	v_add_f64 v[93:94], v[101:102], v[93:94]
	v_fma_f64 v[87:88], v[133:134], s[18:19], v[137:138]
	v_fma_f64 v[97:98], v[133:134], s[18:19], -v[137:138]
	v_add_f64 v[87:88], v[87:88], v[139:140]
	v_fma_f64 v[139:140], v[135:136], s[18:19], -v[91:92]
	v_add_f64 v[91:92], v[97:98], v[89:90]
	v_add_f64 v[89:90], v[99:100], v[93:94]
	v_add_f64 v[85:86], v[139:140], v[85:86]
	ds_write_b128 v40, v[105:108] offset:64
	ds_write_b128 v40, v[28:31] offset:96
	;; [unrolled: 1-line block ×11, first 2 shown]
	ds_write_b128 v40, v[36:39]
	ds_write_b128 v40, v[85:88] offset:384
.LBB0_27:
	s_or_b32 exec_lo, exec_lo, s33
	v_and_b32_e32 v0, 0xff, v56
	v_mov_b32_e32 v1, 6
	s_waitcnt lgkmcnt(0)
	s_barrier
	buffer_gl0_inv
	v_mul_lo_u16 v0, 0x4f, v0
	s_mov_b32 s6, 0x37e14327
	s_mov_b32 s16, 0xe976ee23
	;; [unrolled: 1-line block ×4, first 2 shown]
	v_lshrrev_b16 v65, 11, v0
	s_mov_b32 s8, 0x429ad128
	s_mov_b32 s4, 0x36b3c0b5
	s_mov_b32 s9, 0xbfebfeb5
	s_mov_b32 s5, 0x3fac98ee
	v_mul_lo_u16 v0, v65, 26
	s_mov_b32 s14, 0xaaaaaaaa
	s_mov_b32 s22, 0xb247c609
	;; [unrolled: 1-line block ×4, first 2 shown]
	v_sub_nc_u16 v66, v56, v0
	s_mov_b32 s23, 0xbfd5d0dc
	s_mov_b32 s19, 0x3fe77f67
	;; [unrolled: 1-line block ×4, first 2 shown]
	v_mul_u32_u24_sdwa v0, v66, v1 dst_sel:DWORD dst_unused:UNUSED_PAD src0_sel:BYTE_0 src1_sel:DWORD
	s_mov_b32 s20, s18
	s_mov_b32 s24, s22
	;; [unrolled: 1-line block ×4, first 2 shown]
	v_lshlrev_b32_e32 v20, 4, v0
	s_clause 0x5
	global_load_dwordx4 v[0:3], v20, s[12:13] offset:384
	global_load_dwordx4 v[4:7], v20, s[12:13] offset:400
	;; [unrolled: 1-line block ×6, first 2 shown]
	ds_read_b128 v[24:27], v149 offset:2912
	ds_read_b128 v[28:31], v149 offset:5824
	;; [unrolled: 1-line block ×6, first 2 shown]
	s_waitcnt vmcnt(5) lgkmcnt(5)
	v_mul_f64 v[48:49], v[26:27], v[2:3]
	v_mul_f64 v[2:3], v[24:25], v[2:3]
	s_waitcnt vmcnt(4) lgkmcnt(4)
	v_mul_f64 v[50:51], v[30:31], v[6:7]
	v_mul_f64 v[6:7], v[28:29], v[6:7]
	;; [unrolled: 3-line block ×6, first 2 shown]
	v_fma_f64 v[24:25], v[24:25], v[0:1], v[48:49]
	v_fma_f64 v[0:1], v[26:27], v[0:1], -v[2:3]
	v_fma_f64 v[2:3], v[28:29], v[4:5], v[50:51]
	v_fma_f64 v[4:5], v[30:31], v[4:5], -v[6:7]
	;; [unrolled: 2-line block ×6, first 2 shown]
	v_add_f64 v[22:23], v[24:25], v[6:7]
	v_add_f64 v[26:27], v[0:1], v[8:9]
	;; [unrolled: 1-line block ×4, first 2 shown]
	v_add_f64 v[10:11], v[2:3], -v[10:11]
	v_add_f64 v[4:5], v[4:5], -v[12:13]
	v_add_f64 v[12:13], v[14:15], v[18:19]
	v_add_f64 v[32:33], v[16:17], v[20:21]
	v_add_f64 v[14:15], v[18:19], -v[14:15]
	v_add_f64 v[16:17], v[20:21], -v[16:17]
	;; [unrolled: 1-line block ×4, first 2 shown]
	ds_read_b128 v[0:3], v149
	s_waitcnt lgkmcnt(0)
	s_barrier
	buffer_gl0_inv
	v_add_f64 v[18:19], v[28:29], v[22:23]
	v_add_f64 v[20:21], v[30:31], v[26:27]
	v_add_f64 v[24:25], v[22:23], -v[12:13]
	v_add_f64 v[34:35], v[26:27], -v[32:33]
	;; [unrolled: 1-line block ×6, first 2 shown]
	v_add_f64 v[10:11], v[14:15], v[10:11]
	v_add_f64 v[4:5], v[16:17], v[4:5]
	v_add_f64 v[14:15], v[6:7], -v[14:15]
	v_add_f64 v[16:17], v[8:9], -v[16:17]
	;; [unrolled: 1-line block ×4, first 2 shown]
	v_add_f64 v[18:19], v[12:13], v[18:19]
	v_add_f64 v[20:21], v[32:33], v[20:21]
	v_add_f64 v[12:13], v[12:13], -v[28:29]
	v_add_f64 v[32:33], v[32:33], -v[30:31]
	v_mul_f64 v[24:25], v[24:25], s[6:7]
	v_mul_f64 v[34:35], v[34:35], s[6:7]
	;; [unrolled: 1-line block ×6, first 2 shown]
	v_add_f64 v[6:7], v[10:11], v[6:7]
	v_add_f64 v[4:5], v[4:5], v[8:9]
	;; [unrolled: 1-line block ×4, first 2 shown]
	v_mul_f64 v[28:29], v[12:13], s[4:5]
	v_mul_f64 v[30:31], v[32:33], s[4:5]
	v_fma_f64 v[8:9], v[12:13], s[4:5], v[24:25]
	v_fma_f64 v[10:11], v[32:33], s[4:5], v[34:35]
	;; [unrolled: 1-line block ×4, first 2 shown]
	v_fma_f64 v[36:37], v[40:41], s[8:9], -v[36:37]
	v_fma_f64 v[38:39], v[42:43], s[8:9], -v[38:39]
	;; [unrolled: 1-line block ×6, first 2 shown]
	v_mov_b32_e32 v46, 4
	v_fma_f64 v[18:19], v[18:19], s[14:15], v[0:1]
	v_fma_f64 v[20:21], v[20:21], s[14:15], v[2:3]
	v_fma_f64 v[22:23], v[22:23], s[18:19], -v[28:29]
	v_fma_f64 v[26:27], v[26:27], s[18:19], -v[30:31]
	v_fma_f64 v[28:29], v[6:7], s[26:27], v[12:13]
	v_fma_f64 v[30:31], v[4:5], s[26:27], v[32:33]
	v_fma_f64 v[32:33], v[6:7], s[26:27], v[36:37]
	v_fma_f64 v[36:37], v[4:5], s[26:27], v[38:39]
	v_fma_f64 v[38:39], v[6:7], s[26:27], v[14:15]
	v_fma_f64 v[40:41], v[4:5], s[26:27], v[16:17]
	v_mul_u32_u24_e32 v4, 6, v56
	v_mov_b32_e32 v5, 0xb60
	v_lshlrev_b32_e32 v4, 4, v4
	v_mul_u32_u24_sdwa v49, v65, v5 dst_sel:DWORD dst_unused:UNUSED_PAD src0_sel:WORD_0 src1_sel:DWORD
	v_add_f64 v[42:43], v[8:9], v[18:19]
	v_add_f64 v[44:45], v[10:11], v[20:21]
	v_add_f64 v[24:25], v[24:25], v[18:19]
	v_add_f64 v[34:35], v[34:35], v[20:21]
	v_add_f64 v[16:17], v[22:23], v[18:19]
	v_add_f64 v[18:19], v[26:27], v[20:21]
	v_add_co_u32 v47, s0, s12, v4
	v_add_co_ci_u32_e64 v48, null, s13, 0, s0
	v_add_f64 v[4:5], v[30:31], v[42:43]
	v_add_f64 v[6:7], v[44:45], -v[28:29]
	v_add_f64 v[8:9], v[40:41], v[24:25]
	v_add_f64 v[10:11], v[34:35], -v[38:39]
	v_add_f64 v[12:13], v[16:17], -v[36:37]
	v_add_f64 v[14:15], v[32:33], v[18:19]
	v_add_f64 v[16:17], v[36:37], v[16:17]
	v_add_f64 v[18:19], v[18:19], -v[32:33]
	v_add_f64 v[20:21], v[24:25], -v[40:41]
	v_add_f64 v[22:23], v[38:39], v[34:35]
	v_add_f64 v[24:25], v[42:43], -v[30:31]
	v_add_f64 v[26:27], v[28:29], v[44:45]
	v_add_co_u32 v28, s0, 0xb40, v47
	v_lshlrev_b32_sdwa v32, v46, v66 dst_sel:DWORD dst_unused:UNUSED_PAD src0_sel:DWORD src1_sel:BYTE_0
	v_add_co_ci_u32_e64 v29, s0, 0, v48, s0
	v_add_co_u32 v30, s0, 0x800, v47
	v_add_co_ci_u32_e64 v31, s0, 0, v48, s0
	v_add3_u32 v34, 0, v49, v32
	v_add_co_u32 v32, s0, 0xb80, v47
	v_add_co_ci_u32_e64 v33, s0, 0, v48, s0
	ds_write_b128 v34, v[0:3]
	ds_write_b128 v34, v[4:7] offset:416
	ds_write_b128 v34, v[8:11] offset:832
	;; [unrolled: 1-line block ×6, first 2 shown]
	s_waitcnt lgkmcnt(0)
	s_barrier
	buffer_gl0_inv
	s_clause 0x5
	global_load_dwordx4 v[0:3], v[30:31], off offset:832
	global_load_dwordx4 v[4:7], v[28:29], off offset:16
	;; [unrolled: 1-line block ×6, first 2 shown]
	ds_read_b128 v[24:27], v149 offset:2912
	ds_read_b128 v[28:31], v149 offset:5824
	;; [unrolled: 1-line block ×6, first 2 shown]
	s_waitcnt vmcnt(5) lgkmcnt(5)
	v_mul_f64 v[48:49], v[26:27], v[2:3]
	v_mul_f64 v[2:3], v[24:25], v[2:3]
	s_waitcnt vmcnt(4) lgkmcnt(4)
	v_mul_f64 v[50:51], v[30:31], v[6:7]
	v_mul_f64 v[6:7], v[28:29], v[6:7]
	;; [unrolled: 3-line block ×6, first 2 shown]
	v_fma_f64 v[24:25], v[24:25], v[0:1], v[48:49]
	v_fma_f64 v[0:1], v[26:27], v[0:1], -v[2:3]
	v_fma_f64 v[2:3], v[28:29], v[4:5], v[50:51]
	v_fma_f64 v[4:5], v[30:31], v[4:5], -v[6:7]
	v_fma_f64 v[6:7], v[32:33], v[8:9], v[57:58]
	v_fma_f64 v[8:9], v[34:35], v[8:9], -v[10:11]
	v_fma_f64 v[10:11], v[36:37], v[12:13], v[59:60]
	v_fma_f64 v[12:13], v[38:39], v[12:13], -v[14:15]
	v_fma_f64 v[14:15], v[40:41], v[16:17], v[61:62]
	v_fma_f64 v[16:17], v[42:43], v[16:17], -v[18:19]
	v_fma_f64 v[18:19], v[44:45], v[20:21], v[63:64]
	v_fma_f64 v[20:21], v[46:47], v[20:21], -v[22:23]
	v_add_f64 v[22:23], v[24:25], v[6:7]
	v_add_f64 v[26:27], v[0:1], v[8:9]
	;; [unrolled: 1-line block ×4, first 2 shown]
	v_add_f64 v[10:11], v[2:3], -v[10:11]
	v_add_f64 v[4:5], v[4:5], -v[12:13]
	v_add_f64 v[12:13], v[14:15], v[18:19]
	v_add_f64 v[32:33], v[16:17], v[20:21]
	v_add_f64 v[14:15], v[18:19], -v[14:15]
	v_add_f64 v[16:17], v[20:21], -v[16:17]
	;; [unrolled: 1-line block ×4, first 2 shown]
	v_add_f64 v[0:1], v[28:29], v[22:23]
	v_add_f64 v[2:3], v[30:31], v[26:27]
	v_add_f64 v[18:19], v[22:23], -v[12:13]
	v_add_f64 v[20:21], v[26:27], -v[32:33]
	;; [unrolled: 1-line block ×6, first 2 shown]
	v_add_f64 v[10:11], v[14:15], v[10:11]
	v_add_f64 v[4:5], v[16:17], v[4:5]
	v_add_f64 v[14:15], v[6:7], -v[14:15]
	v_add_f64 v[16:17], v[8:9], -v[16:17]
	;; [unrolled: 1-line block ×4, first 2 shown]
	v_add_f64 v[40:41], v[12:13], v[0:1]
	v_add_f64 v[42:43], v[32:33], v[2:3]
	ds_read_b128 v[0:3], v149
	v_add_f64 v[12:13], v[12:13], -v[28:29]
	v_add_f64 v[32:33], v[32:33], -v[30:31]
	v_mul_f64 v[18:19], v[18:19], s[6:7]
	v_mul_f64 v[20:21], v[20:21], s[6:7]
	;; [unrolled: 1-line block ×6, first 2 shown]
	v_add_f64 v[6:7], v[10:11], v[6:7]
	v_add_f64 v[4:5], v[4:5], v[8:9]
	s_waitcnt lgkmcnt(0)
	s_barrier
	buffer_gl0_inv
	v_add_f64 v[0:1], v[0:1], v[40:41]
	v_add_f64 v[2:3], v[2:3], v[42:43]
	v_mul_f64 v[28:29], v[12:13], s[4:5]
	v_mul_f64 v[30:31], v[32:33], s[4:5]
	v_fma_f64 v[8:9], v[12:13], s[4:5], v[18:19]
	v_fma_f64 v[10:11], v[32:33], s[4:5], v[20:21]
	;; [unrolled: 1-line block ×4, first 2 shown]
	v_fma_f64 v[24:25], v[36:37], s[8:9], -v[24:25]
	v_fma_f64 v[34:35], v[38:39], s[8:9], -v[34:35]
	;; [unrolled: 1-line block ×6, first 2 shown]
	v_fma_f64 v[36:37], v[40:41], s[14:15], v[0:1]
	v_fma_f64 v[38:39], v[42:43], s[14:15], v[2:3]
	v_fma_f64 v[22:23], v[22:23], s[18:19], -v[28:29]
	v_fma_f64 v[26:27], v[26:27], s[18:19], -v[30:31]
	v_fma_f64 v[28:29], v[6:7], s[26:27], v[12:13]
	v_fma_f64 v[30:31], v[4:5], s[26:27], v[32:33]
	;; [unrolled: 1-line block ×6, first 2 shown]
	v_add_f64 v[42:43], v[8:9], v[36:37]
	v_add_f64 v[44:45], v[10:11], v[38:39]
	;; [unrolled: 1-line block ×7, first 2 shown]
	v_add_f64 v[6:7], v[44:45], -v[28:29]
	v_add_f64 v[8:9], v[40:41], v[46:47]
	v_add_f64 v[10:11], v[48:49], -v[34:35]
	v_add_f64 v[12:13], v[16:17], -v[32:33]
	v_add_f64 v[14:15], v[24:25], v[18:19]
	v_add_f64 v[16:17], v[32:33], v[16:17]
	v_add_f64 v[18:19], v[18:19], -v[24:25]
	v_add_f64 v[20:21], v[46:47], -v[40:41]
	v_add_f64 v[22:23], v[34:35], v[48:49]
	v_add_f64 v[24:25], v[42:43], -v[30:31]
	v_add_f64 v[26:27], v[28:29], v[44:45]
	ds_write_b128 v149, v[0:3]
	ds_write_b128 v149, v[4:7] offset:2912
	ds_write_b128 v149, v[8:11] offset:5824
	;; [unrolled: 1-line block ×6, first 2 shown]
	s_waitcnt lgkmcnt(0)
	s_barrier
	buffer_gl0_inv
	s_and_saveexec_b32 s0, vcc_lo
	s_cbranch_execz .LBB0_29
; %bb.28:
	v_mul_lo_u32 v2, s3, v54
	v_mul_lo_u32 v3, s2, v55
	v_mad_u64_u32 v[0:1], null, s2, v54, 0
	v_lshl_add_u32 v17, v56, 4, 0
	v_mov_b32_e32 v57, 0
	v_lshlrev_b64 v[8:9], 4, v[52:53]
	v_add_nc_u32_e32 v10, 0xb6, v56
	v_add_nc_u32_e32 v12, 0x16c, v56
	;; [unrolled: 1-line block ×3, first 2 shown]
	v_add3_u32 v1, v1, v3, v2
	v_mov_b32_e32 v11, v57
	v_lshlrev_b64 v[15:16], 4, v[56:57]
	v_mov_b32_e32 v25, v57
	v_lshlrev_b64 v[13:14], 4, v[0:1]
	ds_read_b128 v[0:3], v17
	ds_read_b128 v[4:7], v17 offset:2912
	v_lshlrev_b64 v[24:25], 4, v[24:25]
	v_add_co_u32 v18, vcc_lo, s10, v13
	v_add_co_ci_u32_e32 v14, vcc_lo, s11, v14, vcc_lo
	v_mov_b32_e32 v13, v57
	v_add_co_u32 v30, vcc_lo, v18, v8
	v_add_co_ci_u32_e32 v31, vcc_lo, v14, v9, vcc_lo
	v_lshlrev_b64 v[8:9], 4, v[10:11]
	v_add_co_u32 v10, vcc_lo, v30, v15
	v_add_co_ci_u32_e32 v11, vcc_lo, v31, v16, vcc_lo
	v_lshlrev_b64 v[12:13], 4, v[12:13]
	v_add_co_u32 v8, vcc_lo, v30, v8
	v_add_co_ci_u32_e32 v9, vcc_lo, v31, v9, vcc_lo
	s_waitcnt lgkmcnt(1)
	global_store_dwordx4 v[10:11], v[0:3], off
	s_waitcnt lgkmcnt(0)
	global_store_dwordx4 v[8:9], v[4:7], off
	v_add_nc_u32_e32 v0, 0x222, v56
	v_mov_b32_e32 v1, v57
	v_add_co_u32 v20, vcc_lo, v30, v12
	v_add_nc_u32_e32 v10, 0x2d8, v56
	v_mov_b32_e32 v11, v57
	v_lshlrev_b64 v[8:9], 4, v[0:1]
	v_add_co_ci_u32_e32 v21, vcc_lo, v31, v13, vcc_lo
	ds_read_b128 v[0:3], v17 offset:5824
	ds_read_b128 v[4:7], v17 offset:8736
	v_lshlrev_b64 v[26:27], 4, v[10:11]
	v_add_nc_u32_e32 v56, 0x444, v56
	v_add_co_u32 v22, vcc_lo, v30, v8
	v_add_co_ci_u32_e32 v23, vcc_lo, v31, v9, vcc_lo
	ds_read_b128 v[8:11], v17 offset:11648
	ds_read_b128 v[12:15], v17 offset:14560
	;; [unrolled: 1-line block ×3, first 2 shown]
	v_add_co_u32 v26, vcc_lo, v30, v26
	v_lshlrev_b64 v[28:29], 4, v[56:57]
	v_add_co_ci_u32_e32 v27, vcc_lo, v31, v27, vcc_lo
	v_add_co_u32 v24, vcc_lo, v30, v24
	v_add_co_ci_u32_e32 v25, vcc_lo, v31, v25, vcc_lo
	v_add_co_u32 v28, vcc_lo, v30, v28
	v_add_co_ci_u32_e32 v29, vcc_lo, v31, v29, vcc_lo
	s_waitcnt lgkmcnt(4)
	global_store_dwordx4 v[20:21], v[0:3], off
	s_waitcnt lgkmcnt(3)
	global_store_dwordx4 v[22:23], v[4:7], off
	;; [unrolled: 2-line block ×5, first 2 shown]
.LBB0_29:
	s_endpgm
	.section	.rodata,"a",@progbits
	.p2align	6, 0x0
	.amdhsa_kernel fft_rtc_back_len1274_factors_2_13_7_7_wgs_182_tpt_182_halfLds_dp_op_CI_CI_unitstride_sbrr_C2R_dirReg
		.amdhsa_group_segment_fixed_size 0
		.amdhsa_private_segment_fixed_size 0
		.amdhsa_kernarg_size 104
		.amdhsa_user_sgpr_count 6
		.amdhsa_user_sgpr_private_segment_buffer 1
		.amdhsa_user_sgpr_dispatch_ptr 0
		.amdhsa_user_sgpr_queue_ptr 0
		.amdhsa_user_sgpr_kernarg_segment_ptr 1
		.amdhsa_user_sgpr_dispatch_id 0
		.amdhsa_user_sgpr_flat_scratch_init 0
		.amdhsa_user_sgpr_private_segment_size 0
		.amdhsa_wavefront_size32 1
		.amdhsa_uses_dynamic_stack 0
		.amdhsa_system_sgpr_private_segment_wavefront_offset 0
		.amdhsa_system_sgpr_workgroup_id_x 1
		.amdhsa_system_sgpr_workgroup_id_y 0
		.amdhsa_system_sgpr_workgroup_id_z 0
		.amdhsa_system_sgpr_workgroup_info 0
		.amdhsa_system_vgpr_workitem_id 0
		.amdhsa_next_free_vgpr 181
		.amdhsa_next_free_sgpr 38
		.amdhsa_reserve_vcc 1
		.amdhsa_reserve_flat_scratch 0
		.amdhsa_float_round_mode_32 0
		.amdhsa_float_round_mode_16_64 0
		.amdhsa_float_denorm_mode_32 3
		.amdhsa_float_denorm_mode_16_64 3
		.amdhsa_dx10_clamp 1
		.amdhsa_ieee_mode 1
		.amdhsa_fp16_overflow 0
		.amdhsa_workgroup_processor_mode 1
		.amdhsa_memory_ordered 1
		.amdhsa_forward_progress 0
		.amdhsa_shared_vgpr_count 0
		.amdhsa_exception_fp_ieee_invalid_op 0
		.amdhsa_exception_fp_denorm_src 0
		.amdhsa_exception_fp_ieee_div_zero 0
		.amdhsa_exception_fp_ieee_overflow 0
		.amdhsa_exception_fp_ieee_underflow 0
		.amdhsa_exception_fp_ieee_inexact 0
		.amdhsa_exception_int_div_zero 0
	.end_amdhsa_kernel
	.text
.Lfunc_end0:
	.size	fft_rtc_back_len1274_factors_2_13_7_7_wgs_182_tpt_182_halfLds_dp_op_CI_CI_unitstride_sbrr_C2R_dirReg, .Lfunc_end0-fft_rtc_back_len1274_factors_2_13_7_7_wgs_182_tpt_182_halfLds_dp_op_CI_CI_unitstride_sbrr_C2R_dirReg
                                        ; -- End function
	.section	.AMDGPU.csdata,"",@progbits
; Kernel info:
; codeLenInByte = 10160
; NumSgprs: 40
; NumVgprs: 181
; ScratchSize: 0
; MemoryBound: 0
; FloatMode: 240
; IeeeMode: 1
; LDSByteSize: 0 bytes/workgroup (compile time only)
; SGPRBlocks: 4
; VGPRBlocks: 22
; NumSGPRsForWavesPerEU: 40
; NumVGPRsForWavesPerEU: 181
; Occupancy: 5
; WaveLimiterHint : 1
; COMPUTE_PGM_RSRC2:SCRATCH_EN: 0
; COMPUTE_PGM_RSRC2:USER_SGPR: 6
; COMPUTE_PGM_RSRC2:TRAP_HANDLER: 0
; COMPUTE_PGM_RSRC2:TGID_X_EN: 1
; COMPUTE_PGM_RSRC2:TGID_Y_EN: 0
; COMPUTE_PGM_RSRC2:TGID_Z_EN: 0
; COMPUTE_PGM_RSRC2:TIDIG_COMP_CNT: 0
	.text
	.p2alignl 6, 3214868480
	.fill 48, 4, 3214868480
	.type	__hip_cuid_4fa78eefa9ef57be,@object ; @__hip_cuid_4fa78eefa9ef57be
	.section	.bss,"aw",@nobits
	.globl	__hip_cuid_4fa78eefa9ef57be
__hip_cuid_4fa78eefa9ef57be:
	.byte	0                               ; 0x0
	.size	__hip_cuid_4fa78eefa9ef57be, 1

	.ident	"AMD clang version 19.0.0git (https://github.com/RadeonOpenCompute/llvm-project roc-6.4.0 25133 c7fe45cf4b819c5991fe208aaa96edf142730f1d)"
	.section	".note.GNU-stack","",@progbits
	.addrsig
	.addrsig_sym __hip_cuid_4fa78eefa9ef57be
	.amdgpu_metadata
---
amdhsa.kernels:
  - .args:
      - .actual_access:  read_only
        .address_space:  global
        .offset:         0
        .size:           8
        .value_kind:     global_buffer
      - .offset:         8
        .size:           8
        .value_kind:     by_value
      - .actual_access:  read_only
        .address_space:  global
        .offset:         16
        .size:           8
        .value_kind:     global_buffer
      - .actual_access:  read_only
        .address_space:  global
        .offset:         24
        .size:           8
        .value_kind:     global_buffer
      - .actual_access:  read_only
        .address_space:  global
        .offset:         32
        .size:           8
        .value_kind:     global_buffer
      - .offset:         40
        .size:           8
        .value_kind:     by_value
      - .actual_access:  read_only
        .address_space:  global
        .offset:         48
        .size:           8
        .value_kind:     global_buffer
      - .actual_access:  read_only
        .address_space:  global
        .offset:         56
        .size:           8
        .value_kind:     global_buffer
      - .offset:         64
        .size:           4
        .value_kind:     by_value
      - .actual_access:  read_only
        .address_space:  global
        .offset:         72
        .size:           8
        .value_kind:     global_buffer
      - .actual_access:  read_only
        .address_space:  global
        .offset:         80
        .size:           8
        .value_kind:     global_buffer
      - .actual_access:  read_only
        .address_space:  global
        .offset:         88
        .size:           8
        .value_kind:     global_buffer
      - .actual_access:  write_only
        .address_space:  global
        .offset:         96
        .size:           8
        .value_kind:     global_buffer
    .group_segment_fixed_size: 0
    .kernarg_segment_align: 8
    .kernarg_segment_size: 104
    .language:       OpenCL C
    .language_version:
      - 2
      - 0
    .max_flat_workgroup_size: 182
    .name:           fft_rtc_back_len1274_factors_2_13_7_7_wgs_182_tpt_182_halfLds_dp_op_CI_CI_unitstride_sbrr_C2R_dirReg
    .private_segment_fixed_size: 0
    .sgpr_count:     40
    .sgpr_spill_count: 0
    .symbol:         fft_rtc_back_len1274_factors_2_13_7_7_wgs_182_tpt_182_halfLds_dp_op_CI_CI_unitstride_sbrr_C2R_dirReg.kd
    .uniform_work_group_size: 1
    .uses_dynamic_stack: false
    .vgpr_count:     181
    .vgpr_spill_count: 0
    .wavefront_size: 32
    .workgroup_processor_mode: 1
amdhsa.target:   amdgcn-amd-amdhsa--gfx1030
amdhsa.version:
  - 1
  - 2
...

	.end_amdgpu_metadata
